;; amdgpu-corpus repo=ROCm/rocFFT kind=compiled arch=gfx1100 opt=O3
	.text
	.amdgcn_target "amdgcn-amd-amdhsa--gfx1100"
	.amdhsa_code_object_version 6
	.protected	fft_rtc_fwd_len84_factors_7_2_6_wgs_120_tpt_12_halfLds_dp_ip_CI_sbrr_dirReg ; -- Begin function fft_rtc_fwd_len84_factors_7_2_6_wgs_120_tpt_12_halfLds_dp_ip_CI_sbrr_dirReg
	.globl	fft_rtc_fwd_len84_factors_7_2_6_wgs_120_tpt_12_halfLds_dp_ip_CI_sbrr_dirReg
	.p2align	8
	.type	fft_rtc_fwd_len84_factors_7_2_6_wgs_120_tpt_12_halfLds_dp_ip_CI_sbrr_dirReg,@function
fft_rtc_fwd_len84_factors_7_2_6_wgs_120_tpt_12_halfLds_dp_ip_CI_sbrr_dirReg: ; @fft_rtc_fwd_len84_factors_7_2_6_wgs_120_tpt_12_halfLds_dp_ip_CI_sbrr_dirReg
; %bb.0:
	s_clause 0x1
	s_load_b64 s[12:13], s[0:1], 0x18
	s_load_b128 s[4:7], s[0:1], 0x0
	v_mul_u32_u24_e32 v1, 0x1556, v0
	s_load_b64 s[10:11], s[0:1], 0x50
	s_waitcnt lgkmcnt(0)
	s_load_b64 s[8:9], s[12:13], 0x0
	s_delay_alu instid0(VALU_DEP_1) | instskip(SKIP_2) | instid1(VALU_DEP_3)
	v_lshrrev_b32_e32 v2, 16, v1
	v_mov_b32_e32 v1, 0
	v_cmp_lt_u64_e64 s2, s[6:7], 2
	v_mad_u64_u32 v[8:9], null, s15, 10, v[2:3]
	v_mov_b32_e32 v3, 0
	s_delay_alu instid0(VALU_DEP_4) | instskip(NEXT) | instid1(VALU_DEP_4)
	v_dual_mov_b32 v4, 0 :: v_dual_mov_b32 v9, v1
	s_and_b32 vcc_lo, exec_lo, s2
	s_delay_alu instid0(VALU_DEP_1)
	v_dual_mov_b32 v11, v9 :: v_dual_mov_b32 v10, v8
	s_cbranch_vccnz .LBB0_8
; %bb.1:
	s_load_b64 s[2:3], s[0:1], 0x10
	v_mov_b32_e32 v3, 0
	v_dual_mov_b32 v4, 0 :: v_dual_mov_b32 v5, v8
	s_add_u32 s14, s12, 8
	v_mov_b32_e32 v6, v9
	s_addc_u32 s15, s13, 0
	s_mov_b64 s[18:19], 1
	s_waitcnt lgkmcnt(0)
	s_add_u32 s16, s2, 8
	s_addc_u32 s17, s3, 0
.LBB0_2:                                ; =>This Inner Loop Header: Depth=1
	s_load_b64 s[20:21], s[16:17], 0x0
                                        ; implicit-def: $vgpr10_vgpr11
	s_mov_b32 s2, exec_lo
	s_waitcnt lgkmcnt(0)
	v_or_b32_e32 v2, s21, v6
	s_delay_alu instid0(VALU_DEP_1)
	v_cmpx_ne_u64_e32 0, v[1:2]
	s_xor_b32 s3, exec_lo, s2
	s_cbranch_execz .LBB0_4
; %bb.3:                                ;   in Loop: Header=BB0_2 Depth=1
	v_cvt_f32_u32_e32 v2, s20
	v_cvt_f32_u32_e32 v7, s21
	s_sub_u32 s2, 0, s20
	s_subb_u32 s22, 0, s21
	s_delay_alu instid0(VALU_DEP_1) | instskip(NEXT) | instid1(VALU_DEP_1)
	v_fmac_f32_e32 v2, 0x4f800000, v7
	v_rcp_f32_e32 v2, v2
	s_waitcnt_depctr 0xfff
	v_mul_f32_e32 v2, 0x5f7ffffc, v2
	s_delay_alu instid0(VALU_DEP_1) | instskip(NEXT) | instid1(VALU_DEP_1)
	v_mul_f32_e32 v7, 0x2f800000, v2
	v_trunc_f32_e32 v7, v7
	s_delay_alu instid0(VALU_DEP_1) | instskip(SKIP_1) | instid1(VALU_DEP_2)
	v_fmac_f32_e32 v2, 0xcf800000, v7
	v_cvt_u32_f32_e32 v7, v7
	v_cvt_u32_f32_e32 v2, v2
	s_delay_alu instid0(VALU_DEP_2) | instskip(NEXT) | instid1(VALU_DEP_2)
	v_mul_lo_u32 v9, s2, v7
	v_mul_hi_u32 v10, s2, v2
	v_mul_lo_u32 v11, s22, v2
	s_delay_alu instid0(VALU_DEP_2) | instskip(SKIP_1) | instid1(VALU_DEP_2)
	v_add_nc_u32_e32 v9, v10, v9
	v_mul_lo_u32 v10, s2, v2
	v_add_nc_u32_e32 v9, v9, v11
	s_delay_alu instid0(VALU_DEP_2) | instskip(NEXT) | instid1(VALU_DEP_2)
	v_mul_hi_u32 v11, v2, v10
	v_mul_lo_u32 v12, v2, v9
	v_mul_hi_u32 v13, v2, v9
	v_mul_hi_u32 v14, v7, v10
	v_mul_lo_u32 v10, v7, v10
	v_mul_hi_u32 v15, v7, v9
	v_mul_lo_u32 v9, v7, v9
	v_add_co_u32 v11, vcc_lo, v11, v12
	v_add_co_ci_u32_e32 v12, vcc_lo, 0, v13, vcc_lo
	s_delay_alu instid0(VALU_DEP_2) | instskip(NEXT) | instid1(VALU_DEP_2)
	v_add_co_u32 v10, vcc_lo, v11, v10
	v_add_co_ci_u32_e32 v10, vcc_lo, v12, v14, vcc_lo
	v_add_co_ci_u32_e32 v11, vcc_lo, 0, v15, vcc_lo
	s_delay_alu instid0(VALU_DEP_2) | instskip(NEXT) | instid1(VALU_DEP_2)
	v_add_co_u32 v9, vcc_lo, v10, v9
	v_add_co_ci_u32_e32 v10, vcc_lo, 0, v11, vcc_lo
	s_delay_alu instid0(VALU_DEP_2) | instskip(NEXT) | instid1(VALU_DEP_2)
	v_add_co_u32 v2, vcc_lo, v2, v9
	v_add_co_ci_u32_e32 v7, vcc_lo, v7, v10, vcc_lo
	s_delay_alu instid0(VALU_DEP_2) | instskip(SKIP_1) | instid1(VALU_DEP_3)
	v_mul_hi_u32 v9, s2, v2
	v_mul_lo_u32 v11, s22, v2
	v_mul_lo_u32 v10, s2, v7
	s_delay_alu instid0(VALU_DEP_1) | instskip(SKIP_1) | instid1(VALU_DEP_2)
	v_add_nc_u32_e32 v9, v9, v10
	v_mul_lo_u32 v10, s2, v2
	v_add_nc_u32_e32 v9, v9, v11
	s_delay_alu instid0(VALU_DEP_2) | instskip(NEXT) | instid1(VALU_DEP_2)
	v_mul_hi_u32 v11, v2, v10
	v_mul_lo_u32 v12, v2, v9
	v_mul_hi_u32 v13, v2, v9
	v_mul_hi_u32 v14, v7, v10
	v_mul_lo_u32 v10, v7, v10
	v_mul_hi_u32 v15, v7, v9
	v_mul_lo_u32 v9, v7, v9
	v_add_co_u32 v11, vcc_lo, v11, v12
	v_add_co_ci_u32_e32 v12, vcc_lo, 0, v13, vcc_lo
	s_delay_alu instid0(VALU_DEP_2) | instskip(NEXT) | instid1(VALU_DEP_2)
	v_add_co_u32 v10, vcc_lo, v11, v10
	v_add_co_ci_u32_e32 v10, vcc_lo, v12, v14, vcc_lo
	v_add_co_ci_u32_e32 v11, vcc_lo, 0, v15, vcc_lo
	s_delay_alu instid0(VALU_DEP_2) | instskip(NEXT) | instid1(VALU_DEP_2)
	v_add_co_u32 v9, vcc_lo, v10, v9
	v_add_co_ci_u32_e32 v10, vcc_lo, 0, v11, vcc_lo
	s_delay_alu instid0(VALU_DEP_2) | instskip(NEXT) | instid1(VALU_DEP_2)
	v_add_co_u32 v2, vcc_lo, v2, v9
	v_add_co_ci_u32_e32 v7, vcc_lo, v7, v10, vcc_lo
	s_delay_alu instid0(VALU_DEP_2) | instskip(SKIP_1) | instid1(VALU_DEP_3)
	v_mul_hi_u32 v15, v5, v2
	v_mad_u64_u32 v[11:12], null, v6, v2, 0
	v_mad_u64_u32 v[9:10], null, v5, v7, 0
	;; [unrolled: 1-line block ×3, first 2 shown]
	s_delay_alu instid0(VALU_DEP_2) | instskip(NEXT) | instid1(VALU_DEP_3)
	v_add_co_u32 v2, vcc_lo, v15, v9
	v_add_co_ci_u32_e32 v7, vcc_lo, 0, v10, vcc_lo
	s_delay_alu instid0(VALU_DEP_2) | instskip(NEXT) | instid1(VALU_DEP_2)
	v_add_co_u32 v2, vcc_lo, v2, v11
	v_add_co_ci_u32_e32 v2, vcc_lo, v7, v12, vcc_lo
	v_add_co_ci_u32_e32 v7, vcc_lo, 0, v14, vcc_lo
	s_delay_alu instid0(VALU_DEP_2) | instskip(NEXT) | instid1(VALU_DEP_2)
	v_add_co_u32 v2, vcc_lo, v2, v13
	v_add_co_ci_u32_e32 v7, vcc_lo, 0, v7, vcc_lo
	s_delay_alu instid0(VALU_DEP_2) | instskip(SKIP_1) | instid1(VALU_DEP_3)
	v_mul_lo_u32 v11, s21, v2
	v_mad_u64_u32 v[9:10], null, s20, v2, 0
	v_mul_lo_u32 v12, s20, v7
	s_delay_alu instid0(VALU_DEP_2) | instskip(NEXT) | instid1(VALU_DEP_2)
	v_sub_co_u32 v9, vcc_lo, v5, v9
	v_add3_u32 v10, v10, v12, v11
	s_delay_alu instid0(VALU_DEP_1) | instskip(NEXT) | instid1(VALU_DEP_1)
	v_sub_nc_u32_e32 v11, v6, v10
	v_subrev_co_ci_u32_e64 v11, s2, s21, v11, vcc_lo
	v_add_co_u32 v12, s2, v2, 2
	s_delay_alu instid0(VALU_DEP_1) | instskip(SKIP_3) | instid1(VALU_DEP_3)
	v_add_co_ci_u32_e64 v13, s2, 0, v7, s2
	v_sub_co_u32 v14, s2, v9, s20
	v_sub_co_ci_u32_e32 v10, vcc_lo, v6, v10, vcc_lo
	v_subrev_co_ci_u32_e64 v11, s2, 0, v11, s2
	v_cmp_le_u32_e32 vcc_lo, s20, v14
	s_delay_alu instid0(VALU_DEP_3) | instskip(SKIP_1) | instid1(VALU_DEP_4)
	v_cmp_eq_u32_e64 s2, s21, v10
	v_cndmask_b32_e64 v14, 0, -1, vcc_lo
	v_cmp_le_u32_e32 vcc_lo, s21, v11
	v_cndmask_b32_e64 v15, 0, -1, vcc_lo
	v_cmp_le_u32_e32 vcc_lo, s20, v9
	;; [unrolled: 2-line block ×3, first 2 shown]
	v_cndmask_b32_e64 v16, 0, -1, vcc_lo
	v_cmp_eq_u32_e32 vcc_lo, s21, v11
	s_delay_alu instid0(VALU_DEP_2) | instskip(SKIP_3) | instid1(VALU_DEP_3)
	v_cndmask_b32_e64 v9, v16, v9, s2
	v_cndmask_b32_e32 v11, v15, v14, vcc_lo
	v_add_co_u32 v14, vcc_lo, v2, 1
	v_add_co_ci_u32_e32 v15, vcc_lo, 0, v7, vcc_lo
	v_cmp_ne_u32_e32 vcc_lo, 0, v11
	s_delay_alu instid0(VALU_DEP_2) | instskip(NEXT) | instid1(VALU_DEP_4)
	v_cndmask_b32_e32 v10, v15, v13, vcc_lo
	v_cndmask_b32_e32 v12, v14, v12, vcc_lo
	v_cmp_ne_u32_e32 vcc_lo, 0, v9
	s_delay_alu instid0(VALU_DEP_2)
	v_dual_cndmask_b32 v11, v7, v10 :: v_dual_cndmask_b32 v10, v2, v12
.LBB0_4:                                ;   in Loop: Header=BB0_2 Depth=1
	s_and_not1_saveexec_b32 s2, s3
	s_cbranch_execz .LBB0_6
; %bb.5:                                ;   in Loop: Header=BB0_2 Depth=1
	v_cvt_f32_u32_e32 v2, s20
	s_sub_i32 s3, 0, s20
	v_mov_b32_e32 v11, v1
	s_delay_alu instid0(VALU_DEP_2) | instskip(SKIP_2) | instid1(VALU_DEP_1)
	v_rcp_iflag_f32_e32 v2, v2
	s_waitcnt_depctr 0xfff
	v_mul_f32_e32 v2, 0x4f7ffffe, v2
	v_cvt_u32_f32_e32 v2, v2
	s_delay_alu instid0(VALU_DEP_1) | instskip(NEXT) | instid1(VALU_DEP_1)
	v_mul_lo_u32 v7, s3, v2
	v_mul_hi_u32 v7, v2, v7
	s_delay_alu instid0(VALU_DEP_1) | instskip(NEXT) | instid1(VALU_DEP_1)
	v_add_nc_u32_e32 v2, v2, v7
	v_mul_hi_u32 v2, v5, v2
	s_delay_alu instid0(VALU_DEP_1) | instskip(SKIP_1) | instid1(VALU_DEP_2)
	v_mul_lo_u32 v7, v2, s20
	v_add_nc_u32_e32 v9, 1, v2
	v_sub_nc_u32_e32 v7, v5, v7
	s_delay_alu instid0(VALU_DEP_1) | instskip(SKIP_1) | instid1(VALU_DEP_2)
	v_subrev_nc_u32_e32 v10, s20, v7
	v_cmp_le_u32_e32 vcc_lo, s20, v7
	v_dual_cndmask_b32 v7, v7, v10 :: v_dual_cndmask_b32 v2, v2, v9
	s_delay_alu instid0(VALU_DEP_1) | instskip(NEXT) | instid1(VALU_DEP_2)
	v_cmp_le_u32_e32 vcc_lo, s20, v7
	v_add_nc_u32_e32 v9, 1, v2
	s_delay_alu instid0(VALU_DEP_1)
	v_cndmask_b32_e32 v10, v2, v9, vcc_lo
.LBB0_6:                                ;   in Loop: Header=BB0_2 Depth=1
	s_or_b32 exec_lo, exec_lo, s2
	s_load_b64 s[2:3], s[14:15], 0x0
	v_mul_lo_u32 v2, v11, s20
	s_delay_alu instid0(VALU_DEP_2)
	v_mul_lo_u32 v7, v10, s21
	v_mad_u64_u32 v[12:13], null, v10, s20, 0
	s_add_u32 s18, s18, 1
	s_addc_u32 s19, s19, 0
	s_add_u32 s14, s14, 8
	s_addc_u32 s15, s15, 0
	;; [unrolled: 2-line block ×3, first 2 shown]
	s_delay_alu instid0(VALU_DEP_1) | instskip(SKIP_1) | instid1(VALU_DEP_2)
	v_add3_u32 v2, v13, v7, v2
	v_sub_co_u32 v7, vcc_lo, v5, v12
	v_sub_co_ci_u32_e32 v2, vcc_lo, v6, v2, vcc_lo
	s_waitcnt lgkmcnt(0)
	s_delay_alu instid0(VALU_DEP_2) | instskip(NEXT) | instid1(VALU_DEP_2)
	v_mul_lo_u32 v9, s3, v7
	v_mul_lo_u32 v2, s2, v2
	v_mad_u64_u32 v[5:6], null, s2, v7, v[3:4]
	v_cmp_ge_u64_e64 s2, s[18:19], s[6:7]
	s_delay_alu instid0(VALU_DEP_1) | instskip(NEXT) | instid1(VALU_DEP_2)
	s_and_b32 vcc_lo, exec_lo, s2
	v_add3_u32 v4, v9, v6, v2
	s_delay_alu instid0(VALU_DEP_3)
	v_mov_b32_e32 v3, v5
	s_cbranch_vccnz .LBB0_8
; %bb.7:                                ;   in Loop: Header=BB0_2 Depth=1
	v_dual_mov_b32 v5, v10 :: v_dual_mov_b32 v6, v11
	s_branch .LBB0_2
.LBB0_8:
	s_lshl_b64 s[2:3], s[6:7], 3
	v_mul_hi_u32 v1, 0x15555556, v0
	s_add_u32 s2, s12, s2
	s_addc_u32 s3, s13, s3
	s_load_b64 s[0:1], s[0:1], 0x20
	s_load_b64 s[2:3], s[2:3], 0x0
	s_delay_alu instid0(VALU_DEP_1) | instskip(NEXT) | instid1(VALU_DEP_1)
	v_mul_u32_u24_e32 v1, 12, v1
	v_sub_nc_u32_e32 v66, v0, v1
	s_delay_alu instid0(VALU_DEP_1)
	v_add_nc_u32_e32 v67, 12, v66
	v_add_nc_u32_e32 v32, 24, v66
	;; [unrolled: 1-line block ×3, first 2 shown]
	s_waitcnt lgkmcnt(0)
	v_cmp_gt_u64_e32 vcc_lo, s[0:1], v[10:11]
	v_mul_lo_u32 v2, s2, v11
	v_mul_lo_u32 v5, s3, v10
	v_mad_u64_u32 v[0:1], null, s2, v10, v[3:4]
	v_cmp_le_u64_e64 s0, s[0:1], v[10:11]
	s_delay_alu instid0(VALU_DEP_2) | instskip(NEXT) | instid1(VALU_DEP_2)
	v_add3_u32 v1, v5, v1, v2
	s_and_saveexec_b32 s1, s0
	s_delay_alu instid0(SALU_CYCLE_1)
	s_xor_b32 s0, exec_lo, s1
; %bb.9:
	v_add_nc_u32_e32 v67, 12, v66
	v_add_nc_u32_e32 v32, 24, v66
	;; [unrolled: 1-line block ×3, first 2 shown]
; %bb.10:
	s_or_saveexec_b32 s1, s0
	v_lshlrev_b64 v[40:41], 4, v[0:1]
                                        ; implicit-def: $vgpr22_vgpr23
                                        ; implicit-def: $vgpr30_vgpr31
                                        ; implicit-def: $vgpr18_vgpr19
                                        ; implicit-def: $vgpr14_vgpr15
                                        ; implicit-def: $vgpr26_vgpr27
                                        ; implicit-def: $vgpr6_vgpr7
                                        ; implicit-def: $vgpr2_vgpr3
	s_xor_b32 exec_lo, exec_lo, s1
	s_cbranch_execz .LBB0_12
; %bb.11:
	v_mad_u64_u32 v[0:1], null, s8, v66, 0
	v_mad_u64_u32 v[2:3], null, s8, v67, 0
	;; [unrolled: 1-line block ×4, first 2 shown]
	v_or_b32_e32 v20, 48, v66
	v_add_co_u32 v22, s0, s10, v40
	v_mad_u64_u32 v[4:5], null, s9, v66, v[1:2]
	v_add_co_ci_u32_e64 v23, s0, s11, v41, s0
	s_delay_alu instid0(VALU_DEP_4) | instskip(SKIP_1) | instid1(VALU_DEP_4)
	v_mad_u64_u32 v[13:14], null, s8, v20, 0
	v_add_nc_u32_e32 v24, 0x48, v66
	v_mad_u64_u32 v[5:6], null, s9, v67, v[3:4]
	v_dual_mov_b32 v1, v4 :: v_dual_mov_b32 v4, v10
	s_delay_alu instid0(VALU_DEP_1) | instskip(NEXT) | instid1(VALU_DEP_3)
	v_lshlrev_b64 v[0:1], 4, v[0:1]
	v_mov_b32_e32 v3, v5
	s_delay_alu instid0(VALU_DEP_3) | instskip(SKIP_1) | instid1(VALU_DEP_3)
	v_mad_u64_u32 v[5:6], null, s9, v32, v[4:5]
	v_add_nc_u32_e32 v21, 60, v66
	v_lshlrev_b64 v[2:3], 4, v[2:3]
	v_add_co_u32 v0, s0, v22, v0
	s_delay_alu instid0(VALU_DEP_1) | instskip(SKIP_1) | instid1(VALU_DEP_4)
	v_add_co_ci_u32_e64 v1, s0, v23, v1, s0
	v_mov_b32_e32 v10, v5
	v_add_co_u32 v6, s0, v22, v2
	s_delay_alu instid0(VALU_DEP_1) | instskip(SKIP_3) | instid1(VALU_DEP_3)
	v_add_co_ci_u32_e64 v7, s0, v23, v3, s0
	v_dual_mov_b32 v2, v12 :: v_dual_mov_b32 v3, v14
	v_mad_u64_u32 v[15:16], null, s8, v21, 0
	v_lshlrev_b64 v[9:10], 4, v[9:10]
	v_mad_u64_u32 v[17:18], null, s9, v33, v[2:3]
	v_mad_u64_u32 v[18:19], null, s9, v20, v[3:4]
	;; [unrolled: 1-line block ×3, first 2 shown]
	s_delay_alu instid0(VALU_DEP_4) | instskip(NEXT) | instid1(VALU_DEP_4)
	v_add_co_u32 v9, s0, v22, v9
	v_mov_b32_e32 v12, v17
	v_add_co_ci_u32_e64 v10, s0, v23, v10, s0
	v_mov_b32_e32 v14, v18
	v_mad_u64_u32 v[17:18], null, s9, v21, v[16:17]
	v_mov_b32_e32 v16, v20
	v_lshlrev_b64 v[11:12], 4, v[11:12]
	s_delay_alu instid0(VALU_DEP_4)
	v_lshlrev_b64 v[13:14], 4, v[13:14]
	s_clause 0x1
	global_load_b128 v[0:3], v[0:1], off
	global_load_b128 v[4:7], v[6:7], off
	v_mad_u64_u32 v[20:21], null, s9, v24, v[16:17]
	v_mov_b32_e32 v16, v17
	v_add_co_u32 v11, s0, v22, v11
	s_delay_alu instid0(VALU_DEP_1) | instskip(NEXT) | instid1(VALU_DEP_3)
	v_add_co_ci_u32_e64 v12, s0, v23, v12, s0
	v_lshlrev_b64 v[15:16], 4, v[15:16]
	v_add_co_u32 v17, s0, v22, v13
	s_delay_alu instid0(VALU_DEP_1) | instskip(SKIP_1) | instid1(VALU_DEP_4)
	v_add_co_ci_u32_e64 v18, s0, v23, v14, s0
	v_lshlrev_b64 v[13:14], 4, v[19:20]
	v_add_co_u32 v20, s0, v22, v15
	s_delay_alu instid0(VALU_DEP_1) | instskip(NEXT) | instid1(VALU_DEP_3)
	v_add_co_ci_u32_e64 v21, s0, v23, v16, s0
	v_add_co_u32 v22, s0, v22, v13
	s_delay_alu instid0(VALU_DEP_1)
	v_add_co_ci_u32_e64 v23, s0, v23, v14, s0
	s_clause 0x4
	global_load_b128 v[24:27], v[9:10], off
	global_load_b128 v[12:15], v[11:12], off
	;; [unrolled: 1-line block ×5, first 2 shown]
.LBB0_12:
	s_or_b32 exec_lo, exec_lo, s1
	s_waitcnt vmcnt(0)
	v_add_f64 v[9:10], v[20:21], v[4:5]
	v_add_f64 v[34:35], v[28:29], v[24:25]
	v_add_f64 v[36:37], v[26:27], -v[30:31]
	v_add_f64 v[38:39], v[16:17], v[12:13]
	v_add_f64 v[42:43], v[18:19], -v[14:15]
	v_add_f64 v[44:45], v[6:7], -v[22:23]
	s_mov_b32 s2, 0x37e14327
	s_mov_b32 s12, 0xe976ee23
	;; [unrolled: 1-line block ×20, first 2 shown]
	v_mul_hi_u32 v11, 0xcccccccd, v8
	v_cmp_gt_u32_e64 s1, 6, v66
	v_add_f64 v[46:47], v[34:35], v[9:10]
	v_add_f64 v[48:49], v[9:10], -v[38:39]
	v_add_f64 v[50:51], v[42:43], -v[36:37]
	;; [unrolled: 1-line block ×3, first 2 shown]
	v_add_f64 v[36:37], v[42:43], v[36:37]
	v_add_f64 v[42:43], v[44:45], -v[42:43]
	v_add_f64 v[46:47], v[38:39], v[46:47]
	v_add_f64 v[38:39], v[38:39], -v[34:35]
	v_mul_f64 v[48:49], v[48:49], s[2:3]
	v_mul_f64 v[50:51], v[50:51], s[12:13]
	;; [unrolled: 1-line block ×3, first 2 shown]
	v_add_f64 v[56:57], v[0:1], v[46:47]
	v_add_f64 v[0:1], v[34:35], -v[9:10]
	v_mul_f64 v[9:10], v[38:39], s[14:15]
	v_add_f64 v[34:35], v[36:37], v[44:45]
	v_fma_f64 v[36:37], v[38:39], s[14:15], v[48:49]
	v_fma_f64 v[38:39], v[42:43], s[22:23], v[50:51]
	v_fma_f64 v[44:45], v[52:53], s[6:7], -v[50:51]
	v_fma_f64 v[42:43], v[42:43], s[24:25], -v[54:55]
	v_fma_f64 v[46:47], v[46:47], s[16:17], v[56:57]
	v_fma_f64 v[48:49], v[0:1], s[20:21], -v[48:49]
	v_fma_f64 v[0:1], v[0:1], s[18:19], -v[9:10]
	v_fma_f64 v[9:10], v[34:35], s[26:27], v[38:39]
	v_fma_f64 v[38:39], v[34:35], s[26:27], v[44:45]
	;; [unrolled: 1-line block ×3, first 2 shown]
	v_add_f64 v[36:37], v[36:37], v[46:47]
	v_add_f64 v[42:43], v[48:49], v[46:47]
	;; [unrolled: 1-line block ×3, first 2 shown]
	s_delay_alu instid0(VALU_DEP_3) | instskip(NEXT) | instid1(VALU_DEP_3)
	v_add_f64 v[44:45], v[9:10], v[36:37]
	v_add_f64 v[46:47], v[34:35], v[42:43]
	s_delay_alu instid0(VALU_DEP_3) | instskip(SKIP_4) | instid1(VALU_DEP_3)
	v_add_f64 v[48:49], v[0:1], -v[38:39]
	v_add_f64 v[38:39], v[38:39], v[0:1]
	v_lshrrev_b32_e32 v0, 3, v11
	v_add_f64 v[34:35], v[42:43], -v[34:35]
	v_add_f64 v[42:43], v[36:37], -v[9:10]
	v_mul_lo_u32 v0, v0, 10
	s_delay_alu instid0(VALU_DEP_1) | instskip(NEXT) | instid1(VALU_DEP_1)
	v_sub_nc_u32_e32 v0, v8, v0
	v_mul_u32_u24_e32 v36, 0x54, v0
	s_delay_alu instid0(VALU_DEP_1) | instskip(SKIP_1) | instid1(VALU_DEP_2)
	v_lshl_add_u32 v1, v36, 3, 0
	v_lshlrev_b32_e32 v71, 3, v36
	v_mad_u32_u24 v0, v66, 56, v1
	v_lshl_add_u32 v70, v66, 3, v1
	v_lshl_add_u32 v69, v67, 3, v1
	;; [unrolled: 1-line block ×3, first 2 shown]
	ds_store_2addr_b64 v0, v[56:57], v[44:45] offset1:1
	ds_store_2addr_b64 v0, v[46:47], v[48:49] offset0:2 offset1:3
	ds_store_2addr_b64 v0, v[38:39], v[34:35] offset0:4 offset1:5
	ds_store_b64 v0, v[42:43] offset:48
	v_mad_i32_i24 v68, 0xffffffd0, v66, v0
	s_waitcnt lgkmcnt(0)
	s_barrier
	buffer_gl0_inv
	ds_load_b64 v[44:45], v70
	ds_load_2addr_b64 v[8:11], v68 offset0:42 offset1:54
	ds_load_b64 v[52:53], v1
	ds_load_b64 v[54:55], v69
	ds_load_b64 v[46:47], v68 offset:528
	v_lshlrev_b32_e32 v34, 3, v33
                                        ; implicit-def: $vgpr48_vgpr49
	s_and_saveexec_b32 s0, s1
	s_cbranch_execz .LBB0_14
; %bb.13:
	s_delay_alu instid0(VALU_DEP_1)
	v_add3_u32 v35, 0, v34, v71
	ds_load_b64 v[42:43], v35
	ds_load_b64 v[48:49], v68 offset:624
.LBB0_14:
	s_or_b32 exec_lo, exec_lo, s0
	v_add_f64 v[6:7], v[22:23], v[6:7]
	v_add_f64 v[22:23], v[30:31], v[26:27]
	v_add_f64 v[24:25], v[24:25], -v[28:29]
	v_add_f64 v[14:15], v[18:19], v[14:15]
	v_add_f64 v[12:13], v[16:17], -v[12:13]
	v_add_f64 v[4:5], v[4:5], -v[20:21]
	s_waitcnt lgkmcnt(0)
	s_barrier
	buffer_gl0_inv
                                        ; implicit-def: $vgpr64_vgpr65
	v_add_f64 v[16:17], v[22:23], v[6:7]
	v_add_f64 v[18:19], v[6:7], -v[14:15]
	v_add_f64 v[20:21], v[12:13], -v[24:25]
	;; [unrolled: 1-line block ×3, first 2 shown]
	v_add_f64 v[24:25], v[12:13], v[24:25]
	v_add_f64 v[12:13], v[4:5], -v[12:13]
	v_add_f64 v[6:7], v[22:23], -v[6:7]
	v_add_f64 v[16:17], v[14:15], v[16:17]
	v_add_f64 v[14:15], v[14:15], -v[22:23]
	v_mul_f64 v[18:19], v[18:19], s[2:3]
	v_mul_f64 v[20:21], v[20:21], s[12:13]
	;; [unrolled: 1-line block ×3, first 2 shown]
	v_add_f64 v[4:5], v[24:25], v[4:5]
	v_add_f64 v[2:3], v[2:3], v[16:17]
	v_mul_f64 v[22:23], v[14:15], s[14:15]
	v_fma_f64 v[14:15], v[14:15], s[14:15], v[18:19]
	v_fma_f64 v[24:25], v[12:13], s[22:23], v[20:21]
	v_fma_f64 v[20:21], v[26:27], s[6:7], -v[20:21]
	v_fma_f64 v[12:13], v[12:13], s[24:25], -v[28:29]
	v_fma_f64 v[18:19], v[6:7], s[20:21], -v[18:19]
	v_fma_f64 v[16:17], v[16:17], s[16:17], v[2:3]
	v_fma_f64 v[6:7], v[6:7], s[18:19], -v[22:23]
	v_fma_f64 v[22:23], v[4:5], s[26:27], v[24:25]
	v_fma_f64 v[20:21], v[4:5], s[26:27], v[20:21]
	;; [unrolled: 1-line block ×3, first 2 shown]
	v_add_f64 v[12:13], v[14:15], v[16:17]
	v_add_f64 v[14:15], v[18:19], v[16:17]
	;; [unrolled: 1-line block ×3, first 2 shown]
	s_delay_alu instid0(VALU_DEP_3) | instskip(NEXT) | instid1(VALU_DEP_3)
	v_add_f64 v[16:17], v[12:13], -v[22:23]
	v_add_f64 v[18:19], v[14:15], -v[4:5]
	s_delay_alu instid0(VALU_DEP_3)
	v_add_f64 v[24:25], v[20:21], v[6:7]
	v_add_f64 v[6:7], v[6:7], -v[20:21]
	v_add_f64 v[4:5], v[4:5], v[14:15]
	v_add_f64 v[50:51], v[22:23], v[12:13]
	ds_store_2addr_b64 v0, v[2:3], v[16:17] offset1:1
	ds_store_2addr_b64 v0, v[18:19], v[24:25] offset0:2 offset1:3
	ds_store_2addr_b64 v0, v[6:7], v[4:5] offset0:4 offset1:5
	ds_store_b64 v0, v[50:51] offset:48
	s_waitcnt lgkmcnt(0)
	s_barrier
	buffer_gl0_inv
	ds_load_b64 v[56:57], v70
	ds_load_2addr_b64 v[12:15], v68 offset0:42 offset1:54
	ds_load_b64 v[58:59], v1
	ds_load_b64 v[60:61], v69
	ds_load_b64 v[62:63], v68 offset:528
	s_and_saveexec_b32 s0, s1
	s_cbranch_execz .LBB0_16
; %bb.15:
	v_add3_u32 v0, 0, v34, v71
	ds_load_b64 v[50:51], v0
	ds_load_b64 v[64:65], v68 offset:624
.LBB0_16:
	s_or_b32 exec_lo, exec_lo, s0
	v_and_b32_e32 v0, 0xff, v67
	v_and_b32_e32 v1, 0xff, v32
	;; [unrolled: 1-line block ×3, first 2 shown]
	v_cmp_gt_u32_e64 s0, 7, v66
	s_delay_alu instid0(VALU_DEP_4) | instskip(NEXT) | instid1(VALU_DEP_4)
	v_mul_lo_u16 v0, v0, 37
	v_mul_lo_u16 v1, v1, 37
	s_delay_alu instid0(VALU_DEP_4) | instskip(NEXT) | instid1(VALU_DEP_3)
	v_mul_lo_u16 v2, v2, 37
	v_lshrrev_b16 v0, 8, v0
	s_delay_alu instid0(VALU_DEP_3) | instskip(NEXT) | instid1(VALU_DEP_3)
	v_lshrrev_b16 v1, 8, v1
	v_lshrrev_b16 v2, 8, v2
	s_delay_alu instid0(VALU_DEP_3) | instskip(NEXT) | instid1(VALU_DEP_3)
	v_sub_nc_u16 v3, v67, v0
	v_sub_nc_u16 v4, v32, v1
	s_delay_alu instid0(VALU_DEP_3) | instskip(NEXT) | instid1(VALU_DEP_3)
	v_sub_nc_u16 v5, v33, v2
	v_lshrrev_b16 v3, 1, v3
	s_delay_alu instid0(VALU_DEP_3) | instskip(NEXT) | instid1(VALU_DEP_3)
	v_lshrrev_b16 v4, 1, v4
	v_lshrrev_b16 v5, 1, v5
	s_delay_alu instid0(VALU_DEP_3) | instskip(NEXT) | instid1(VALU_DEP_3)
	v_and_b32_e32 v3, 0x7f, v3
	v_and_b32_e32 v4, 0x7f, v4
	s_delay_alu instid0(VALU_DEP_3) | instskip(NEXT) | instid1(VALU_DEP_3)
	v_and_b32_e32 v5, 0x7f, v5
	v_add_nc_u16 v0, v3, v0
	v_mov_b32_e32 v3, 0
	s_delay_alu instid0(VALU_DEP_4) | instskip(NEXT) | instid1(VALU_DEP_4)
	v_add_nc_u16 v1, v4, v1
	v_add_nc_u16 v2, v5, v2
	s_delay_alu instid0(VALU_DEP_4) | instskip(NEXT) | instid1(VALU_DEP_3)
	v_lshrrev_b16 v7, 2, v0
	v_lshrrev_b16 v72, 2, v1
	s_delay_alu instid0(VALU_DEP_3) | instskip(SKIP_1) | instid1(VALU_DEP_4)
	v_lshrrev_b16 v0, 2, v2
	v_add_nc_u32_e32 v1, -7, v66
	v_mul_lo_u16 v4, v7, 7
	v_and_b32_e32 v7, 0xffff, v7
	v_mul_lo_u16 v5, v72, 7
	v_mul_lo_u16 v0, v0, 7
	v_cndmask_b32_e64 v2, v1, v66, s0
	v_sub_nc_u16 v4, v67, v4
	v_mad_u32_u24 v7, 0x70, v7, 0
	v_sub_nc_u16 v5, v32, v5
	v_sub_nc_u16 v6, v33, v0
	v_lshlrev_b64 v[0:1], 4, v[2:3]
	v_and_b32_e32 v73, 0xff, v4
	v_lshlrev_b32_e32 v2, 3, v2
	v_and_b32_e32 v74, 0xff, v5
	v_and_b32_e32 v75, 0xff, v6
	v_add_co_u32 v0, s0, s4, v0
	s_delay_alu instid0(VALU_DEP_1)
	v_add_co_ci_u32_e64 v1, s0, s5, v1, s0
	v_lshlrev_b32_e32 v3, 4, v73
	v_lshlrev_b32_e32 v4, 4, v74
	;; [unrolled: 1-line block ×3, first 2 shown]
	s_clause 0x3
	global_load_b128 v[24:27], v[0:1], off
	global_load_b128 v[28:31], v3, s[4:5]
	global_load_b128 v[32:35], v4, s[4:5]
	;; [unrolled: 1-line block ×3, first 2 shown]
	v_cmp_lt_u32_e64 s0, 6, v66
	s_waitcnt vmcnt(0) lgkmcnt(0)
	s_barrier
	buffer_gl0_inv
	v_mul_f64 v[0:1], v[12:13], v[26:27]
	v_mul_f64 v[3:4], v[14:15], v[30:31]
	;; [unrolled: 1-line block ×4, first 2 shown]
	s_delay_alu instid0(VALU_DEP_4) | instskip(NEXT) | instid1(VALU_DEP_4)
	v_fma_f64 v[0:1], v[8:9], v[24:25], -v[0:1]
	v_fma_f64 v[3:4], v[10:11], v[28:29], -v[3:4]
	s_delay_alu instid0(VALU_DEP_4) | instskip(NEXT) | instid1(VALU_DEP_4)
	v_fma_f64 v[5:6], v[46:47], v[32:33], -v[5:6]
	v_fma_f64 v[16:17], v[48:49], v[36:37], -v[16:17]
	s_delay_alu instid0(VALU_DEP_4) | instskip(NEXT) | instid1(VALU_DEP_4)
	v_add_f64 v[18:19], v[44:45], -v[0:1]
	v_add_f64 v[3:4], v[54:55], -v[3:4]
	s_delay_alu instid0(VALU_DEP_4) | instskip(NEXT) | instid1(VALU_DEP_4)
	v_add_f64 v[5:6], v[52:53], -v[5:6]
	v_add_f64 v[0:1], v[42:43], -v[16:17]
	s_delay_alu instid0(VALU_DEP_4) | instskip(NEXT) | instid1(VALU_DEP_4)
	v_fma_f64 v[16:17], v[44:45], 2.0, -v[18:19]
	v_fma_f64 v[20:21], v[54:55], 2.0, -v[3:4]
	s_delay_alu instid0(VALU_DEP_4) | instskip(NEXT) | instid1(VALU_DEP_4)
	v_fma_f64 v[22:23], v[52:53], 2.0, -v[5:6]
	v_fma_f64 v[42:43], v[42:43], 2.0, -v[0:1]
	v_cndmask_b32_e64 v44, 0, 0x70, s0
	v_and_b32_e32 v45, 0xffff, v72
	v_lshlrev_b32_e32 v52, 3, v73
	v_lshlrev_b32_e32 v53, 3, v74
	;; [unrolled: 1-line block ×3, first 2 shown]
	v_add_nc_u32_e32 v44, 0, v44
	v_mad_u32_u24 v45, 0x70, v45, 0
	v_add3_u32 v74, v7, v52, v71
	s_delay_alu instid0(VALU_DEP_3) | instskip(NEXT) | instid1(VALU_DEP_3)
	v_add3_u32 v73, v44, v2, v71
	v_add3_u32 v75, v45, v53, v71
	ds_store_2addr_b64 v73, v[16:17], v[18:19] offset1:7
	ds_store_2addr_b64 v74, v[20:21], v[3:4] offset1:7
	;; [unrolled: 1-line block ×3, first 2 shown]
	s_and_saveexec_b32 s0, s1
	s_cbranch_execz .LBB0_18
; %bb.17:
	v_add3_u32 v2, 0, v72, v71
	ds_store_2addr_b64 v2, v[42:43], v[0:1] offset0:70 offset1:77
.LBB0_18:
	s_or_b32 exec_lo, exec_lo, s0
	s_waitcnt lgkmcnt(0)
	s_barrier
	buffer_gl0_inv
	ds_load_2addr_b64 v[20:23], v68 offset0:14 offset1:28
	ds_load_2addr_b64 v[16:19], v68 offset0:42 offset1:56
	ds_load_b64 v[52:53], v70
	ds_load_b64 v[54:55], v68 offset:560
	v_cmp_gt_u32_e64 s0, 2, v66
                                        ; implicit-def: $vgpr44_vgpr45
                                        ; implicit-def: $vgpr6_vgpr7
	s_delay_alu instid0(VALU_DEP_1)
	s_and_saveexec_b32 s2, s0
	s_cbranch_execz .LBB0_20
; %bb.19:
	ds_load_2addr_b64 v[0:3], v68 offset0:26 offset1:40
	ds_load_2addr_b64 v[4:7], v68 offset0:54 offset1:68
	ds_load_b64 v[42:43], v69
	ds_load_b64 v[44:45], v68 offset:656
.LBB0_20:
	s_or_b32 exec_lo, exec_lo, s2
	v_mul_f64 v[8:9], v[8:9], v[26:27]
	v_mul_f64 v[10:11], v[10:11], v[30:31]
	;; [unrolled: 1-line block ×4, first 2 shown]
	s_waitcnt lgkmcnt(0)
	s_barrier
	buffer_gl0_inv
	v_fma_f64 v[8:9], v[12:13], v[24:25], v[8:9]
	v_fma_f64 v[10:11], v[14:15], v[28:29], v[10:11]
	v_fma_f64 v[14:15], v[64:65], v[36:37], v[30:31]
	v_fma_f64 v[12:13], v[62:63], v[32:33], v[26:27]
	s_delay_alu instid0(VALU_DEP_4) | instskip(NEXT) | instid1(VALU_DEP_4)
	v_add_f64 v[24:25], v[56:57], -v[8:9]
	v_add_f64 v[10:11], v[60:61], -v[10:11]
	s_delay_alu instid0(VALU_DEP_4) | instskip(NEXT) | instid1(VALU_DEP_4)
	v_add_f64 v[8:9], v[50:51], -v[14:15]
	v_add_f64 v[12:13], v[58:59], -v[12:13]
	s_delay_alu instid0(VALU_DEP_4) | instskip(NEXT) | instid1(VALU_DEP_4)
	v_fma_f64 v[14:15], v[56:57], 2.0, -v[24:25]
	v_fma_f64 v[26:27], v[60:61], 2.0, -v[10:11]
	s_delay_alu instid0(VALU_DEP_4) | instskip(NEXT) | instid1(VALU_DEP_4)
	v_fma_f64 v[32:33], v[50:51], 2.0, -v[8:9]
	v_fma_f64 v[28:29], v[58:59], 2.0, -v[12:13]
	ds_store_2addr_b64 v73, v[14:15], v[24:25] offset1:7
	ds_store_2addr_b64 v74, v[26:27], v[10:11] offset1:7
	;; [unrolled: 1-line block ×3, first 2 shown]
	s_and_saveexec_b32 s2, s1
	s_cbranch_execz .LBB0_22
; %bb.21:
	v_add3_u32 v10, 0, v72, v71
	ds_store_2addr_b64 v10, v[32:33], v[8:9] offset0:70 offset1:77
.LBB0_22:
	s_or_b32 exec_lo, exec_lo, s2
	s_waitcnt lgkmcnt(0)
	s_barrier
	buffer_gl0_inv
	ds_load_2addr_b64 v[24:27], v68 offset0:14 offset1:28
	ds_load_2addr_b64 v[28:31], v68 offset0:42 offset1:56
	ds_load_b64 v[36:37], v70
	ds_load_b64 v[38:39], v68 offset:560
                                        ; implicit-def: $vgpr34_vgpr35
                                        ; implicit-def: $vgpr14_vgpr15
	s_and_saveexec_b32 s1, s0
	s_cbranch_execz .LBB0_24
; %bb.23:
	ds_load_2addr_b64 v[8:11], v68 offset0:26 offset1:40
	ds_load_2addr_b64 v[12:15], v68 offset0:54 offset1:68
	ds_load_b64 v[32:33], v69
	ds_load_b64 v[34:35], v68 offset:656
.LBB0_24:
	s_or_b32 exec_lo, exec_lo, s1
	s_and_saveexec_b32 s1, vcc_lo
	s_cbranch_execz .LBB0_27
; %bb.25:
	v_mul_u32_u24_e32 v46, 5, v66
	s_mov_b32 s2, 0xe8584caa
	s_mov_b32 s3, 0x3febb67a
	;; [unrolled: 1-line block ×4, first 2 shown]
	v_lshlrev_b32_e32 v50, 4, v46
	v_add_nc_u32_e32 v80, 0x46, v66
	s_clause 0x4
	global_load_b128 v[46:49], v50, s[4:5] offset:144
	global_load_b128 v[56:59], v50, s[4:5] offset:176
	;; [unrolled: 1-line block ×5, first 2 shown]
	s_waitcnt vmcnt(4) lgkmcnt(2)
	v_mul_f64 v[50:51], v[28:29], v[48:49]
	v_mul_f64 v[48:49], v[16:17], v[48:49]
	s_waitcnt vmcnt(3)
	v_mul_f64 v[64:65], v[54:55], v[58:59]
	s_waitcnt lgkmcnt(0)
	v_mul_f64 v[58:59], v[38:39], v[58:59]
	s_waitcnt vmcnt(2)
	v_mul_f64 v[76:77], v[24:25], v[62:63]
	v_mul_f64 v[62:63], v[20:21], v[62:63]
	v_fma_f64 v[16:17], v[16:17], v[46:47], -v[50:51]
	v_fma_f64 v[28:29], v[28:29], v[46:47], v[48:49]
	v_fma_f64 v[38:39], v[38:39], v[56:57], v[64:65]
	v_fma_f64 v[46:47], v[54:55], v[56:57], -v[58:59]
	s_waitcnt vmcnt(1)
	v_mul_f64 v[48:49], v[26:27], v[70:71]
	v_mul_f64 v[50:51], v[22:23], v[70:71]
	s_waitcnt vmcnt(0)
	v_mul_f64 v[54:55], v[18:19], v[74:75]
	v_mul_f64 v[56:57], v[30:31], v[74:75]
	v_fma_f64 v[20:21], v[20:21], v[60:61], -v[76:77]
	v_fma_f64 v[24:25], v[24:25], v[60:61], v[62:63]
	v_add_f64 v[58:59], v[28:29], v[38:39]
	v_add_f64 v[60:61], v[16:17], v[46:47]
	v_fma_f64 v[22:23], v[22:23], v[68:69], -v[48:49]
	v_fma_f64 v[26:27], v[26:27], v[68:69], v[50:51]
	v_fma_f64 v[30:31], v[30:31], v[72:73], v[54:55]
	v_fma_f64 v[18:19], v[18:19], v[72:73], -v[56:57]
	v_add_f64 v[48:49], v[28:29], -v[38:39]
	v_add_f64 v[50:51], v[16:17], -v[46:47]
	v_add_f64 v[16:17], v[20:21], v[16:17]
	v_mad_u64_u32 v[68:69], null, s8, v66, 0
	v_add_nc_u32_e32 v77, 28, v66
	v_fma_f64 v[54:55], v[58:59], -0.5, v[24:25]
	v_fma_f64 v[56:57], v[60:61], -0.5, v[20:21]
	v_add_f64 v[24:25], v[24:25], v[28:29]
	v_add_f64 v[58:59], v[26:27], v[30:31]
	;; [unrolled: 1-line block ×3, first 2 shown]
	v_fma_f64 v[62:63], v[50:51], s[2:3], v[54:55]
	v_fma_f64 v[64:65], v[48:49], s[2:3], v[56:57]
	;; [unrolled: 1-line block ×4, first 2 shown]
	v_add_f64 v[54:55], v[22:23], -v[18:19]
	v_add_f64 v[22:23], v[52:53], v[22:23]
	v_add_f64 v[56:57], v[36:37], v[26:27]
	v_fma_f64 v[20:21], v[58:59], -0.5, v[36:37]
	v_add_f64 v[26:27], v[26:27], -v[30:31]
	v_fma_f64 v[28:29], v[60:61], -0.5, v[52:53]
	v_add_f64 v[24:25], v[24:25], v[38:39]
	v_add_f64 v[38:39], v[16:17], v[46:47]
	v_add_co_u32 v16, vcc_lo, s10, v40
	v_add_co_ci_u32_e32 v17, vcc_lo, s11, v41, vcc_lo
	v_mul_f64 v[36:37], v[62:63], -0.5
	v_mul_f64 v[52:53], v[64:65], s[6:7]
	v_mul_f64 v[60:61], v[50:51], s[2:3]
	v_mul_f64 v[58:59], v[48:49], -0.5
	v_add_f64 v[22:23], v[22:23], v[18:19]
	v_mov_b32_e32 v18, v69
	v_add_f64 v[30:31], v[56:57], v[30:31]
	v_fma_f64 v[46:47], v[54:55], s[2:3], v[20:21]
	v_fma_f64 v[54:55], v[54:55], s[6:7], v[20:21]
	;; [unrolled: 1-line block ×4, first 2 shown]
	v_mad_u64_u32 v[19:20], null, s9, v66, v[18:19]
	v_add_nc_u32_e32 v78, 42, v66
	v_mad_u64_u32 v[72:73], null, s8, v77, 0
	s_delay_alu instid0(VALU_DEP_3) | instskip(NEXT) | instid1(VALU_DEP_3)
	v_mov_b32_e32 v69, v19
	v_mad_u64_u32 v[74:75], null, s8, v78, 0
	s_delay_alu instid0(VALU_DEP_3) | instskip(NEXT) | instid1(VALU_DEP_3)
	v_mov_b32_e32 v20, v73
	v_lshlrev_b64 v[68:69], 4, v[68:69]
	s_delay_alu instid0(VALU_DEP_3)
	v_mov_b32_e32 v21, v75
	v_fma_f64 v[36:37], v[48:49], s[6:7], v[36:37]
	v_fma_f64 v[50:51], v[50:51], 0.5, v[52:53]
	v_fma_f64 v[60:61], v[64:65], 0.5, v[60:61]
	v_fma_f64 v[58:59], v[62:63], s[2:3], v[58:59]
	v_mad_u64_u32 v[64:65], null, s8, v80, 0
	v_add_nc_u32_e32 v76, 14, v66
	v_mad_u64_u32 v[48:49], null, s9, v77, v[20:21]
	s_delay_alu instid0(VALU_DEP_3) | instskip(NEXT) | instid1(VALU_DEP_3)
	v_mov_b32_e32 v29, v65
	v_mad_u64_u32 v[70:71], null, s8, v76, 0
	v_add_nc_u32_e32 v79, 56, v66
	s_delay_alu instid0(VALU_DEP_2) | instskip(NEXT) | instid1(VALU_DEP_2)
	v_dual_mov_b32 v73, v48 :: v_dual_mov_b32 v18, v71
	v_mad_u64_u32 v[62:63], null, s8, v79, 0
	s_delay_alu instid0(VALU_DEP_2) | instskip(SKIP_1) | instid1(VALU_DEP_3)
	v_mad_u64_u32 v[40:41], null, s9, v76, v[18:19]
	v_mad_u64_u32 v[75:76], null, s9, v78, v[21:22]
	v_mov_b32_e32 v28, v63
	v_add_f64 v[20:21], v[30:31], -v[24:25]
	v_add_f64 v[18:19], v[22:23], -v[38:39]
	v_add_f64 v[24:25], v[30:31], v[24:25]
	v_add_f64 v[22:23], v[22:23], v[38:39]
	v_mad_u64_u32 v[76:77], null, s9, v79, v[28:29]
	v_mov_b32_e32 v71, v40
	v_mad_u64_u32 v[77:78], null, s9, v80, v[29:30]
	v_add_f64 v[28:29], v[46:47], -v[36:37]
	v_add_f64 v[38:39], v[46:47], v[36:37]
	v_add_f64 v[48:49], v[54:55], v[50:51]
	v_mov_b32_e32 v63, v76
	v_add_f64 v[46:47], v[26:27], v[60:61]
	v_add_f64 v[36:37], v[56:57], v[58:59]
	v_add_f64 v[52:53], v[54:55], -v[50:51]
	v_add_f64 v[50:51], v[26:27], -v[60:61]
	;; [unrolled: 1-line block ×3, first 2 shown]
	v_lshlrev_b64 v[30:31], 4, v[70:71]
	v_lshlrev_b64 v[40:41], 4, v[72:73]
	v_add_co_u32 v60, vcc_lo, v16, v68
	v_add_co_ci_u32_e32 v61, vcc_lo, v17, v69, vcc_lo
	v_lshlrev_b64 v[54:55], 4, v[74:75]
	v_add_co_u32 v30, vcc_lo, v16, v30
	v_mov_b32_e32 v65, v77
	v_add_co_ci_u32_e32 v31, vcc_lo, v17, v31, vcc_lo
	v_lshlrev_b64 v[56:57], 4, v[62:63]
	v_add_co_u32 v40, vcc_lo, v16, v40
	v_add_co_ci_u32_e32 v41, vcc_lo, v17, v41, vcc_lo
	v_lshlrev_b64 v[58:59], 4, v[64:65]
	v_add_co_u32 v54, vcc_lo, v16, v54
	v_add_co_ci_u32_e32 v55, vcc_lo, v17, v55, vcc_lo
	v_add_co_u32 v56, vcc_lo, v16, v56
	v_add_co_ci_u32_e32 v57, vcc_lo, v17, v57, vcc_lo
	;; [unrolled: 2-line block ×3, first 2 shown]
	s_clause 0x5
	global_store_b128 v[60:61], v[22:25], off
	global_store_b128 v[30:31], v[46:49], off
	;; [unrolled: 1-line block ×6, first 2 shown]
	s_and_b32 exec_lo, exec_lo, s0
	s_cbranch_execz .LBB0_27
; %bb.26:
	v_dual_mov_b32 v19, 0 :: v_dual_add_nc_u32 v18, -2, v66
	v_or_b32_e32 v52, 40, v66
	v_or_b32_e32 v53, 54, v66
	;; [unrolled: 1-line block ×3, first 2 shown]
	s_delay_alu instid0(VALU_DEP_4) | instskip(SKIP_1) | instid1(VALU_DEP_2)
	v_cndmask_b32_e64 v18, v18, v67, s0
	v_or_b32_e32 v55, 0x52, v66
	v_mul_i32_i24_e32 v18, 5, v18
	s_delay_alu instid0(VALU_DEP_1) | instskip(NEXT) | instid1(VALU_DEP_1)
	v_lshlrev_b64 v[18:19], 4, v[18:19]
	v_add_co_u32 v30, vcc_lo, s4, v18
	s_delay_alu instid0(VALU_DEP_2)
	v_add_co_ci_u32_e32 v31, vcc_lo, s5, v19, vcc_lo
	s_clause 0x4
	global_load_b128 v[18:21], v[30:31], off offset:144
	global_load_b128 v[22:25], v[30:31], off offset:176
	;; [unrolled: 1-line block ×5, first 2 shown]
	s_waitcnt vmcnt(4)
	v_mul_f64 v[30:31], v[12:13], v[20:21]
	v_mul_f64 v[20:21], v[4:5], v[20:21]
	s_waitcnt vmcnt(3)
	v_mul_f64 v[40:41], v[44:45], v[24:25]
	v_mul_f64 v[24:25], v[34:35], v[24:25]
	;; [unrolled: 3-line block ×3, first 2 shown]
	v_fma_f64 v[4:5], v[4:5], v[18:19], -v[30:31]
	v_fma_f64 v[12:13], v[12:13], v[18:19], v[20:21]
	v_fma_f64 v[18:19], v[34:35], v[22:23], v[40:41]
	v_fma_f64 v[20:21], v[44:45], v[22:23], -v[24:25]
	s_waitcnt vmcnt(1)
	v_mul_f64 v[22:23], v[10:11], v[38:39]
	v_mul_f64 v[24:25], v[2:3], v[38:39]
	s_waitcnt vmcnt(0)
	v_mul_f64 v[30:31], v[14:15], v[48:49]
	v_mul_f64 v[34:35], v[6:7], v[48:49]
	v_fma_f64 v[0:1], v[0:1], v[26:27], -v[50:51]
	v_fma_f64 v[8:9], v[8:9], v[26:27], v[28:29]
	v_or_b32_e32 v50, 12, v66
	v_or_b32_e32 v51, 26, v66
	s_delay_alu instid0(VALU_DEP_1)
	v_mad_u64_u32 v[44:45], null, s8, v51, 0
	v_add_f64 v[26:27], v[12:13], v[18:19]
	v_add_f64 v[28:29], v[4:5], v[20:21]
	v_fma_f64 v[2:3], v[2:3], v[36:37], -v[22:23]
	v_fma_f64 v[10:11], v[10:11], v[36:37], v[24:25]
	v_fma_f64 v[6:7], v[6:7], v[46:47], -v[30:31]
	v_fma_f64 v[14:15], v[14:15], v[46:47], v[34:35]
	v_add_f64 v[22:23], v[12:13], -v[18:19]
	v_add_f64 v[24:25], v[4:5], -v[20:21]
	v_mad_u64_u32 v[46:47], null, s8, v52, 0
	v_fma_f64 v[26:27], v[26:27], -0.5, v[8:9]
	v_fma_f64 v[28:29], v[28:29], -0.5, v[0:1]
	v_add_f64 v[0:1], v[0:1], v[4:5]
	v_add_f64 v[4:5], v[8:9], v[12:13]
	;; [unrolled: 1-line block ×4, first 2 shown]
	v_fma_f64 v[36:37], v[24:25], s[6:7], v[26:27]
	v_fma_f64 v[38:39], v[22:23], s[6:7], v[28:29]
	;; [unrolled: 1-line block ×4, first 2 shown]
	v_add_f64 v[26:27], v[42:43], v[2:3]
	v_add_f64 v[28:29], v[10:11], -v[14:15]
	v_add_f64 v[10:11], v[32:33], v[10:11]
	v_fma_f64 v[8:9], v[30:31], -0.5, v[42:43]
	v_add_f64 v[2:3], v[2:3], -v[6:7]
	v_fma_f64 v[12:13], v[34:35], -0.5, v[32:33]
	v_add_f64 v[18:19], v[4:5], v[18:19]
	v_mad_u64_u32 v[42:43], null, s8, v50, 0
	v_mul_f64 v[30:31], v[36:37], s[2:3]
	v_mul_f64 v[32:33], v[38:39], -0.5
	v_mul_f64 v[34:35], v[22:23], s[6:7]
	v_mul_f64 v[40:41], v[24:25], -0.5
	v_add_f64 v[6:7], v[26:27], v[6:7]
	v_add_f64 v[10:11], v[10:11], v[14:15]
	;; [unrolled: 1-line block ×3, first 2 shown]
	v_fma_f64 v[20:21], v[28:29], s[2:3], v[8:9]
	v_fma_f64 v[26:27], v[28:29], s[6:7], v[8:9]
	;; [unrolled: 1-line block ×4, first 2 shown]
	v_dual_mov_b32 v0, v43 :: v_dual_mov_b32 v1, v45
	s_delay_alu instid0(VALU_DEP_1) | instskip(NEXT) | instid1(VALU_DEP_1)
	v_mad_u64_u32 v[8:9], null, s9, v50, v[0:1]
	v_dual_mov_b32 v2, v47 :: v_dual_mov_b32 v43, v8
	s_delay_alu instid0(VALU_DEP_1) | instskip(NEXT) | instid1(VALU_DEP_1)
	v_mad_u64_u32 v[12:13], null, s9, v51, v[1:2]
	v_mov_b32_e32 v45, v12
	v_fma_f64 v[22:23], v[22:23], 0.5, v[30:31]
	v_fma_f64 v[24:25], v[24:25], s[2:3], v[32:33]
	v_fma_f64 v[30:31], v[36:37], 0.5, v[34:35]
	v_fma_f64 v[32:33], v[38:39], s[6:7], v[40:41]
	v_mad_u64_u32 v[34:35], null, s8, v53, 0
	v_mad_u64_u32 v[36:37], null, s8, v54, 0
	;; [unrolled: 1-line block ×3, first 2 shown]
	s_delay_alu instid0(VALU_DEP_2) | instskip(NEXT) | instid1(VALU_DEP_2)
	v_dual_mov_b32 v3, v35 :: v_dual_mov_b32 v4, v37
	v_mov_b32_e32 v5, v39
	s_delay_alu instid0(VALU_DEP_2) | instskip(NEXT) | instid1(VALU_DEP_3)
	v_mad_u64_u32 v[0:1], null, s9, v52, v[2:3]
	v_mad_u64_u32 v[1:2], null, s9, v53, v[3:4]
	s_delay_alu instid0(VALU_DEP_3)
	v_mad_u64_u32 v[39:40], null, s9, v54, v[4:5]
	v_add_f64 v[2:3], v[10:11], v[18:19]
	v_mad_u64_u32 v[40:41], null, s9, v55, v[5:6]
	v_mov_b32_e32 v47, v0
	v_mov_b32_e32 v35, v1
	v_add_f64 v[0:1], v[6:7], v[14:15]
	v_add_f64 v[4:5], v[6:7], -v[14:15]
	v_add_f64 v[6:7], v[10:11], -v[18:19]
	v_mov_b32_e32 v37, v39
	v_mov_b32_e32 v39, v40
	v_add_f64 v[8:9], v[20:21], v[22:23]
	v_add_f64 v[12:13], v[26:27], v[24:25]
	;; [unrolled: 1-line block ×4, first 2 shown]
	v_add_f64 v[18:19], v[20:21], -v[22:23]
	v_add_f64 v[20:21], v[28:29], -v[30:31]
	v_add_f64 v[22:23], v[26:27], -v[24:25]
	v_add_f64 v[24:25], v[48:49], -v[32:33]
	v_lshlrev_b64 v[26:27], 4, v[42:43]
	v_lshlrev_b64 v[28:29], 4, v[44:45]
	;; [unrolled: 1-line block ×6, first 2 shown]
	v_add_co_u32 v26, vcc_lo, v16, v26
	v_add_co_ci_u32_e32 v27, vcc_lo, v17, v27, vcc_lo
	v_add_co_u32 v28, vcc_lo, v16, v28
	v_add_co_ci_u32_e32 v29, vcc_lo, v17, v29, vcc_lo
	;; [unrolled: 2-line block ×6, first 2 shown]
	s_clause 0x5
	global_store_b128 v[26:27], v[0:3], off
	global_store_b128 v[28:29], v[8:11], off
	;; [unrolled: 1-line block ×6, first 2 shown]
.LBB0_27:
	s_nop 0
	s_sendmsg sendmsg(MSG_DEALLOC_VGPRS)
	s_endpgm
	.section	.rodata,"a",@progbits
	.p2align	6, 0x0
	.amdhsa_kernel fft_rtc_fwd_len84_factors_7_2_6_wgs_120_tpt_12_halfLds_dp_ip_CI_sbrr_dirReg
		.amdhsa_group_segment_fixed_size 0
		.amdhsa_private_segment_fixed_size 0
		.amdhsa_kernarg_size 88
		.amdhsa_user_sgpr_count 15
		.amdhsa_user_sgpr_dispatch_ptr 0
		.amdhsa_user_sgpr_queue_ptr 0
		.amdhsa_user_sgpr_kernarg_segment_ptr 1
		.amdhsa_user_sgpr_dispatch_id 0
		.amdhsa_user_sgpr_private_segment_size 0
		.amdhsa_wavefront_size32 1
		.amdhsa_uses_dynamic_stack 0
		.amdhsa_enable_private_segment 0
		.amdhsa_system_sgpr_workgroup_id_x 1
		.amdhsa_system_sgpr_workgroup_id_y 0
		.amdhsa_system_sgpr_workgroup_id_z 0
		.amdhsa_system_sgpr_workgroup_info 0
		.amdhsa_system_vgpr_workitem_id 0
		.amdhsa_next_free_vgpr 81
		.amdhsa_next_free_sgpr 28
		.amdhsa_reserve_vcc 1
		.amdhsa_float_round_mode_32 0
		.amdhsa_float_round_mode_16_64 0
		.amdhsa_float_denorm_mode_32 3
		.amdhsa_float_denorm_mode_16_64 3
		.amdhsa_dx10_clamp 1
		.amdhsa_ieee_mode 1
		.amdhsa_fp16_overflow 0
		.amdhsa_workgroup_processor_mode 1
		.amdhsa_memory_ordered 1
		.amdhsa_forward_progress 0
		.amdhsa_shared_vgpr_count 0
		.amdhsa_exception_fp_ieee_invalid_op 0
		.amdhsa_exception_fp_denorm_src 0
		.amdhsa_exception_fp_ieee_div_zero 0
		.amdhsa_exception_fp_ieee_overflow 0
		.amdhsa_exception_fp_ieee_underflow 0
		.amdhsa_exception_fp_ieee_inexact 0
		.amdhsa_exception_int_div_zero 0
	.end_amdhsa_kernel
	.text
.Lfunc_end0:
	.size	fft_rtc_fwd_len84_factors_7_2_6_wgs_120_tpt_12_halfLds_dp_ip_CI_sbrr_dirReg, .Lfunc_end0-fft_rtc_fwd_len84_factors_7_2_6_wgs_120_tpt_12_halfLds_dp_ip_CI_sbrr_dirReg
                                        ; -- End function
	.section	.AMDGPU.csdata,"",@progbits
; Kernel info:
; codeLenInByte = 6288
; NumSgprs: 30
; NumVgprs: 81
; ScratchSize: 0
; MemoryBound: 1
; FloatMode: 240
; IeeeMode: 1
; LDSByteSize: 0 bytes/workgroup (compile time only)
; SGPRBlocks: 3
; VGPRBlocks: 10
; NumSGPRsForWavesPerEU: 30
; NumVGPRsForWavesPerEU: 81
; Occupancy: 16
; WaveLimiterHint : 1
; COMPUTE_PGM_RSRC2:SCRATCH_EN: 0
; COMPUTE_PGM_RSRC2:USER_SGPR: 15
; COMPUTE_PGM_RSRC2:TRAP_HANDLER: 0
; COMPUTE_PGM_RSRC2:TGID_X_EN: 1
; COMPUTE_PGM_RSRC2:TGID_Y_EN: 0
; COMPUTE_PGM_RSRC2:TGID_Z_EN: 0
; COMPUTE_PGM_RSRC2:TIDIG_COMP_CNT: 0
	.text
	.p2alignl 7, 3214868480
	.fill 96, 4, 3214868480
	.type	__hip_cuid_a7cfa9e24451169f,@object ; @__hip_cuid_a7cfa9e24451169f
	.section	.bss,"aw",@nobits
	.globl	__hip_cuid_a7cfa9e24451169f
__hip_cuid_a7cfa9e24451169f:
	.byte	0                               ; 0x0
	.size	__hip_cuid_a7cfa9e24451169f, 1

	.ident	"AMD clang version 19.0.0git (https://github.com/RadeonOpenCompute/llvm-project roc-6.4.0 25133 c7fe45cf4b819c5991fe208aaa96edf142730f1d)"
	.section	".note.GNU-stack","",@progbits
	.addrsig
	.addrsig_sym __hip_cuid_a7cfa9e24451169f
	.amdgpu_metadata
---
amdhsa.kernels:
  - .args:
      - .actual_access:  read_only
        .address_space:  global
        .offset:         0
        .size:           8
        .value_kind:     global_buffer
      - .offset:         8
        .size:           8
        .value_kind:     by_value
      - .actual_access:  read_only
        .address_space:  global
        .offset:         16
        .size:           8
        .value_kind:     global_buffer
      - .actual_access:  read_only
        .address_space:  global
        .offset:         24
        .size:           8
        .value_kind:     global_buffer
      - .offset:         32
        .size:           8
        .value_kind:     by_value
      - .actual_access:  read_only
        .address_space:  global
        .offset:         40
        .size:           8
        .value_kind:     global_buffer
      - .actual_access:  read_only
        .address_space:  global
        .offset:         48
        .size:           8
        .value_kind:     global_buffer
      - .offset:         56
        .size:           4
        .value_kind:     by_value
      - .actual_access:  read_only
        .address_space:  global
        .offset:         64
        .size:           8
        .value_kind:     global_buffer
      - .actual_access:  read_only
        .address_space:  global
        .offset:         72
        .size:           8
        .value_kind:     global_buffer
      - .address_space:  global
        .offset:         80
        .size:           8
        .value_kind:     global_buffer
    .group_segment_fixed_size: 0
    .kernarg_segment_align: 8
    .kernarg_segment_size: 88
    .language:       OpenCL C
    .language_version:
      - 2
      - 0
    .max_flat_workgroup_size: 120
    .name:           fft_rtc_fwd_len84_factors_7_2_6_wgs_120_tpt_12_halfLds_dp_ip_CI_sbrr_dirReg
    .private_segment_fixed_size: 0
    .sgpr_count:     30
    .sgpr_spill_count: 0
    .symbol:         fft_rtc_fwd_len84_factors_7_2_6_wgs_120_tpt_12_halfLds_dp_ip_CI_sbrr_dirReg.kd
    .uniform_work_group_size: 1
    .uses_dynamic_stack: false
    .vgpr_count:     81
    .vgpr_spill_count: 0
    .wavefront_size: 32
    .workgroup_processor_mode: 1
amdhsa.target:   amdgcn-amd-amdhsa--gfx1100
amdhsa.version:
  - 1
  - 2
...

	.end_amdgpu_metadata
